;; amdgpu-corpus repo=triton-lang/triton kind=triton arch=gfx950 opt=O3 lang=triton
	.amdgcn_target "amdgcn-amd-amdhsa--gfx950"
	.amdhsa_code_object_version 5
	.text
	.globl	_sum_bitmatrix_rows             ; -- Begin function _sum_bitmatrix_rows
	.p2align	8
	.type	_sum_bitmatrix_rows,@function
_sum_bitmatrix_rows:                    ; @_sum_bitmatrix_rows
.Lfunc_begin0:
	.cfi_sections .debug_frame
	.cfi_startproc
; %bb.7:
	.file	1 "/root/src/amdgpu-assembly/repos/triton-lang__triton-aot" "sum_bitmatrix_rows.py"
	.loc	1 47 0 prologue_end             ; sum_bitmatrix_rows.py:47:0
	s_load_dwordx2 s[2:3], s[0:1], 0x0
	s_load_dwordx8 s[4:11], s[0:1], 0x8
	s_load_dwordx4 s[12:15], s[0:1], 0x28
	s_waitcnt lgkmcnt(0)
	s_branch .LBB0_0
	.loc	1 0 0 is_stmt 0                 ; :0:0
.Ltmp0:
	.p2align	8
; %bb.8:
.LBB0_0:
.Ltmp1:
	.loc	1 67 32 is_stmt 1               ; sum_bitmatrix_rows.py:67:32
	v_readfirstlane_b32 s11, v0
	s_movk_i32 s1, 0xffc0
	s_mov_b32 s0, s17
	.loc	1 57 46                         ; sum_bitmatrix_rows.py:57:46
	v_mov_b32_e32 v1, s11
	v_bfi_b32 v1, s1, v1, v0
	v_bfe_u32 v2, v1, 2, 7
	.loc	1 57 33 is_stmt 0               ; sum_bitmatrix_rows.py:57:33
	v_lshl_or_b32 v2, s16, 7, v2
	.loc	1 58 79 is_stmt 1               ; sum_bitmatrix_rows.py:58:79
	v_cmp_gt_i32_e32 vcc, s4, v2
	.loc	1 58 19 is_stmt 0               ; sum_bitmatrix_rows.py:58:19
	v_mov_b32_e32 v3, 0
	s_and_saveexec_b64 s[4:5], vcc
	s_cbranch_execz .LBB0_2
; %bb.1:
	.loc	1 0 19                          ; sum_bitmatrix_rows.py:0:19
	s_ashr_i32 s1, s0, 31
	s_lshl_b64 s[12:13], s[0:1], 2
	s_add_u32 s2, s2, s12
	v_lshlrev_b32_e32 v2, 7, v2
	s_addc_u32 s3, s3, s13
	v_ashrrev_i32_e32 v3, 31, v2
	v_lshl_add_u64 v[2:3], v[2:3], 2, s[2:3]
	.loc	1 58 19                         ; sum_bitmatrix_rows.py:58:19
	global_load_dword v3, v[2:3], off
.LBB0_2:
	.loc	1 0 19                          ; sum_bitmatrix_rows.py:0:19
	s_or_b64 exec, exec, s[4:5]
.Ltmp2:
	.loc	1 27 30 is_stmt 1               ; sum_bitmatrix_rows.py:27:30 @[ sum_bitmatrix_rows.py:61:28 ]
	v_and_b32_e32 v2, 3, v0
	.loc	1 27 14 is_stmt 0               ; sum_bitmatrix_rows.py:27:14 @[ sum_bitmatrix_rows.py:61:28 ]
	s_waitcnt vmcnt(0)
	v_lshrrev_b32_e32 v3, v2, v3
	.loc	1 27 54                         ; sum_bitmatrix_rows.py:27:54 @[ sum_bitmatrix_rows.py:61:28 ]
	v_and_b32_e32 v3, 0x11111111, v3
.Ltmp3:
	.file	2 "/root/.local/lib/python3.13/site-packages/triton/language" "standard.py"
	.loc	2 293 36 is_stmt 1              ; standard.py:293:36 @[ sum_bitmatrix_rows.py:28:18 @[ sum_bitmatrix_rows.py:61:28 ] ]
	ds_swizzle_b32 v4, v3 offset:swizzle(SWAP,16)
.Ltmp4:
	.loc	1 34 22                         ; sum_bitmatrix_rows.py:34:22 @[ sum_bitmatrix_rows.py:61:28 ]
	s_lshr_b32 s1, s11, 1
	v_lshrrev_b32_e32 v1, 3, v1
	s_and_b32 s1, s1, 0x80
	v_lshlrev_b32_e32 v5, 5, v2
.Ltmp5:
	.loc	2 263 15                        ; standard.py:263:15 @[ standard.py:293:36 @[ sum_bitmatrix_rows.py:28:18 @[ sum_bitmatrix_rows.py:61:28 ] ] ]
	s_waitcnt lgkmcnt(0)
	v_add_u32_e32 v3, v3, v4
.Ltmp6:
	.loc	2 293 36                        ; standard.py:293:36 @[ sum_bitmatrix_rows.py:28:18 @[ sum_bitmatrix_rows.py:61:28 ] ]
	v_mov_b32_e32 v4, v3
.Ltmp7:
	.loc	1 34 22                         ; sum_bitmatrix_rows.py:34:22 @[ sum_bitmatrix_rows.py:61:28 ]
	v_and_b32_e32 v1, 28, v1
	s_add_i32 s1, s1, 0
.Ltmp8:
	.loc	2 293 36                        ; standard.py:293:36 @[ sum_bitmatrix_rows.py:28:18 @[ sum_bitmatrix_rows.py:61:28 ] ]
	v_mov_b32_dpp v4, v4 row_shr:8 row_mask:0xf bank_mask:0xc
.Ltmp9:
	.loc	1 34 22                         ; sum_bitmatrix_rows.py:34:22 @[ sum_bitmatrix_rows.py:61:28 ]
	v_add3_u32 v1, s1, v1, v5
	s_and_b32 s1, s11, 64
.Ltmp10:
	.loc	2 293 36                        ; standard.py:293:36 @[ sum_bitmatrix_rows.py:28:18 @[ sum_bitmatrix_rows.py:61:28 ] ]
	v_mov_b32_dpp v4, v3 row_shl:8 row_mask:0xf bank_mask:0x3
.Ltmp11:
	.loc	2 263 15                        ; standard.py:263:15 @[ standard.py:293:36 @[ sum_bitmatrix_rows.py:28:18 @[ sum_bitmatrix_rows.py:61:28 ] ] ]
	v_add_u32_e32 v3, v3, v4
.Ltmp12:
	.loc	2 293 36                        ; standard.py:293:36 @[ sum_bitmatrix_rows.py:28:18 @[ sum_bitmatrix_rows.py:61:28 ] ]
	v_mov_b32_e32 v4, v3
.Ltmp13:
	.loc	1 34 22                         ; sum_bitmatrix_rows.py:34:22 @[ sum_bitmatrix_rows.py:61:28 ]
	s_lshl1_add_u32 s2, s1, 0
	.loc	1 39 22                         ; sum_bitmatrix_rows.py:39:22 @[ sum_bitmatrix_rows.py:61:28 ]
	v_lshl_add_u32 v2, v2, 4, 0
.Ltmp14:
	.loc	2 293 36                        ; standard.py:293:36 @[ sum_bitmatrix_rows.py:28:18 @[ sum_bitmatrix_rows.py:61:28 ] ]
	v_mov_b32_dpp v4, v4 row_shr:4 row_mask:0xf bank_mask:0xa
.Ltmp15:
	.loc	1 39 22                         ; sum_bitmatrix_rows.py:39:22 @[ sum_bitmatrix_rows.py:61:28 ]
	s_lshr_b32 s1, s1, 4
.Ltmp16:
	.loc	1 64 21                         ; sum_bitmatrix_rows.py:64:21
	s_lshl_b32 s0, s0, 5
.Ltmp17:
	.loc	2 293 36                        ; standard.py:293:36 @[ sum_bitmatrix_rows.py:28:18 @[ sum_bitmatrix_rows.py:61:28 ] ]
	v_mov_b32_dpp v4, v3 row_shl:4 row_mask:0xf bank_mask:0x5
.Ltmp18:
	.loc	2 263 15                        ; standard.py:263:15 @[ standard.py:293:36 @[ sum_bitmatrix_rows.py:28:18 @[ sum_bitmatrix_rows.py:61:28 ] ] ]
	v_add_u32_e32 v3, v3, v4
.Ltmp19:
	.loc	1 34 22                         ; sum_bitmatrix_rows.py:34:22 @[ sum_bitmatrix_rows.py:61:28 ]
	ds_write_b32 v1, v3
	v_lshrrev_b32_e32 v1, 1, v0
	v_and_b32_e32 v1, 28, v1
	v_add3_u32 v1, s2, v1, v5
	s_waitcnt lgkmcnt(0)
	s_barrier
	ds_read_b32 v1, v1
	.loc	1 35 32                         ; sum_bitmatrix_rows.py:35:32 @[ sum_bitmatrix_rows.py:61:28 ]
	v_and_b32_e32 v3, 4, v0
.Ltmp20:
	.loc	2 293 36                        ; standard.py:293:36 @[ sum_bitmatrix_rows.py:36:18 @[ sum_bitmatrix_rows.py:61:28 ] ]
	v_lshlrev_b32_e32 v4, 2, v0
	v_xor_b32_e32 v4, 0x80, v4
.Ltmp21:
	.loc	1 39 22                         ; sum_bitmatrix_rows.py:39:22 @[ sum_bitmatrix_rows.py:61:28 ]
	v_lshl_add_u32 v2, v3, 1, v2
	.loc	1 35 14                         ; sum_bitmatrix_rows.py:35:14 @[ sum_bitmatrix_rows.py:61:28 ]
	s_waitcnt lgkmcnt(0)
	v_lshrrev_b32_e32 v1, v3, v1
	.loc	1 35 66 is_stmt 0               ; sum_bitmatrix_rows.py:35:66 @[ sum_bitmatrix_rows.py:61:28 ]
	v_and_b32_e32 v1, 0xf0f0f0f, v1
.Ltmp22:
	.loc	2 293 36 is_stmt 1              ; standard.py:293:36 @[ sum_bitmatrix_rows.py:36:18 @[ sum_bitmatrix_rows.py:61:28 ] ]
	ds_bpermute_b32 v4, v4, v1
.Ltmp23:
	.loc	1 39 22                         ; sum_bitmatrix_rows.py:39:22 @[ sum_bitmatrix_rows.py:61:28 ]
	v_add_u32_e32 v3, s1, v2
	s_waitcnt lgkmcnt(0)
	s_barrier
.Ltmp24:
	.loc	1 65 87                         ; sum_bitmatrix_rows.py:65:87
	s_and_b32 s1, s11, 0x1c0
.Ltmp25:
	.loc	2 263 15                        ; standard.py:263:15 @[ standard.py:293:36 @[ sum_bitmatrix_rows.py:36:18 @[ sum_bitmatrix_rows.py:61:28 ] ] ]
	v_add_u32_e32 v1, v1, v4
.Ltmp26:
	.loc	2 293 36                        ; standard.py:293:36 @[ sum_bitmatrix_rows.py:36:18 @[ sum_bitmatrix_rows.py:61:28 ] ]
	ds_swizzle_b32 v4, v1 offset:swizzle(SWAP,16)
.Ltmp27:
	.loc	2 263 15                        ; standard.py:263:15 @[ standard.py:293:36 @[ sum_bitmatrix_rows.py:36:18 @[ sum_bitmatrix_rows.py:61:28 ] ] ]
	s_waitcnt lgkmcnt(0)
	v_add_u32_e32 v1, v1, v4
.Ltmp28:
	.loc	2 293 36                        ; standard.py:293:36 @[ sum_bitmatrix_rows.py:36:18 @[ sum_bitmatrix_rows.py:61:28 ] ]
	v_mov_b32_e32 v4, v1
	s_nop 1
	v_mov_b32_dpp v4, v4 row_shr:8 row_mask:0xf bank_mask:0xc
	s_nop 1
	v_mov_b32_dpp v4, v1 row_shl:8 row_mask:0xf bank_mask:0x3
.Ltmp29:
	.loc	2 263 15                        ; standard.py:263:15 @[ standard.py:293:36 @[ sum_bitmatrix_rows.py:36:18 @[ sum_bitmatrix_rows.py:61:28 ] ] ]
	v_add_u32_e32 v1, v1, v4
.Ltmp30:
	.loc	1 39 22                         ; sum_bitmatrix_rows.py:39:22 @[ sum_bitmatrix_rows.py:61:28 ]
	ds_write_b32 v3, v1
	v_lshrrev_b32_e32 v1, 3, v0
	v_and_b32_e32 v1, 4, v1
	v_add_u32_e32 v1, v2, v1
	s_waitcnt lgkmcnt(0)
	s_barrier
	ds_read_b32 v1, v1
	.loc	1 27 27                         ; sum_bitmatrix_rows.py:27:27 @[ sum_bitmatrix_rows.py:61:28 ]
	v_and_b32_e32 v2, 24, v0
.Ltmp31:
	.loc	1 65 87                         ; sum_bitmatrix_rows.py:65:87
	v_bfe_u32 v3, v0, 1, 5
.Ltmp32:
	.loc	1 40 60                         ; sum_bitmatrix_rows.py:40:60 @[ sum_bitmatrix_rows.py:61:28 ]
	s_waitcnt lgkmcnt(0)
	v_bfe_u32 v1, v1, v2, 8
.Ltmp33:
	.loc	1 65 87                         ; sum_bitmatrix_rows.py:65:87
	v_lshlrev_b32_e32 v2, 5, v0
	v_and_or_b32 v2, v2, 32, v3
	v_lshlrev_b32_e32 v2, 2, v2
	ds_bpermute_b32 v2, v2, v1
	s_cbranch_scc1 .LBB0_4
; %bb.3:
.Ltmp34:
	.loc	1 35 32                         ; sum_bitmatrix_rows.py:35:32 @[ sum_bitmatrix_rows.py:61:28 ]
	v_and_b32_e32 v4, 1, v0
.Ltmp35:
	.loc	1 63 34                         ; sum_bitmatrix_rows.py:63:34
	v_lshl_or_b32 v4, s16, 1, v4
	.loc	1 64 26                         ; sum_bitmatrix_rows.py:64:26
	v_or_b32_e32 v3, s0, v3
	.loc	1 65 27                         ; sum_bitmatrix_rows.py:65:27
	v_ashrrev_i32_e32 v5, 31, v4
	.loc	1 65 76 is_stmt 0               ; sum_bitmatrix_rows.py:65:76
	v_mul_lo_u32 v6, s10, v3
	.loc	1 65 27                         ; sum_bitmatrix_rows.py:65:27
	v_lshl_add_u64 v[4:5], v[4:5], 2, s[8:9]
	.loc	1 65 58                         ; sum_bitmatrix_rows.py:65:58
	v_ashrrev_i32_e32 v7, 31, v6
	v_lshl_add_u64 v[4:5], v[6:7], 2, v[4:5]
	.loc	1 65 87                         ; sum_bitmatrix_rows.py:65:87
	s_waitcnt lgkmcnt(0)
	global_store_dword v[4:5], v2, off
.LBB0_4:
.Ltmp36:
	.loc	2 293 36 is_stmt 1              ; standard.py:293:36 @[ sum_bitmatrix_rows.py:67:56 ]
	s_waitcnt lgkmcnt(0)
	v_mov_b32_e32 v2, v1
.Ltmp37:
	.loc	1 67 32                         ; sum_bitmatrix_rows.py:67:32
	v_and_or_b32 v3, v0, 32, s1
.Ltmp38:
	.loc	2 293 36                        ; standard.py:293:36 @[ sum_bitmatrix_rows.py:67:56 ]
	s_nop 0
	v_permlane32_swap_b32_e32 v1, v2
.Ltmp39:
	.loc	1 67 32                         ; sum_bitmatrix_rows.py:67:32
	v_cmp_eq_u32_e32 vcc, 0, v3
	s_and_saveexec_b64 s[2:3], vcc
	s_cbranch_execz .LBB0_6
; %bb.5:
	.loc	1 64 26                         ; sum_bitmatrix_rows.py:64:26
	v_and_or_b32 v4, v0, 31, s0
	v_ashrrev_i32_e32 v5, 31, v4
	v_lshl_add_u64 v[4:5], v[4:5], 2, s[6:7]
	v_add_u32_e32 v0, v1, v2
	.loc	1 67 32                         ; sum_bitmatrix_rows.py:67:32
	global_atomic_add v[4:5], v0, off
.LBB0_6:
	.loc	1 67 4 is_stmt 0                ; sum_bitmatrix_rows.py:67:4
	s_endpgm
.Ltmp40:
	.section	.rodata,"a",@progbits
	.p2align	6, 0x0
	.amdhsa_kernel _sum_bitmatrix_rows
		.amdhsa_group_segment_fixed_size 0
		.amdhsa_private_segment_fixed_size 0
		.amdhsa_kernarg_size 56
		.amdhsa_user_sgpr_count 16
		.amdhsa_user_sgpr_dispatch_ptr 0
		.amdhsa_user_sgpr_queue_ptr 0
		.amdhsa_user_sgpr_kernarg_segment_ptr 1
		.amdhsa_user_sgpr_dispatch_id 0
		.amdhsa_user_sgpr_kernarg_preload_length 14
		.amdhsa_user_sgpr_kernarg_preload_offset 0
		.amdhsa_user_sgpr_private_segment_size 0
		.amdhsa_uses_dynamic_stack 0
		.amdhsa_enable_private_segment 0
		.amdhsa_system_sgpr_workgroup_id_x 1
		.amdhsa_system_sgpr_workgroup_id_y 1
		.amdhsa_system_sgpr_workgroup_id_z 0
		.amdhsa_system_sgpr_workgroup_info 0
		.amdhsa_system_vgpr_workitem_id 0
		.amdhsa_next_free_vgpr 8
		.amdhsa_next_free_sgpr 18
		.amdhsa_accum_offset 8
		.amdhsa_reserve_vcc 1
		.amdhsa_reserve_xnack_mask 1
		.amdhsa_float_round_mode_32 0
		.amdhsa_float_round_mode_16_64 0
		.amdhsa_float_denorm_mode_32 3
		.amdhsa_float_denorm_mode_16_64 3
		.amdhsa_dx10_clamp 1
		.amdhsa_ieee_mode 1
		.amdhsa_fp16_overflow 0
		.amdhsa_tg_split 0
		.amdhsa_exception_fp_ieee_invalid_op 0
		.amdhsa_exception_fp_denorm_src 0
		.amdhsa_exception_fp_ieee_div_zero 0
		.amdhsa_exception_fp_ieee_overflow 0
		.amdhsa_exception_fp_ieee_underflow 0
		.amdhsa_exception_fp_ieee_inexact 0
		.amdhsa_exception_int_div_zero 0
	.end_amdhsa_kernel
	.text
.Lfunc_end0:
	.size	_sum_bitmatrix_rows, .Lfunc_end0-_sum_bitmatrix_rows
	.cfi_endproc
                                        ; -- End function
	.set _sum_bitmatrix_rows.num_vgpr, 8
	.set _sum_bitmatrix_rows.num_agpr, 0
	.set _sum_bitmatrix_rows.numbered_sgpr, 18
	.set _sum_bitmatrix_rows.num_named_barrier, 0
	.set _sum_bitmatrix_rows.private_seg_size, 0
	.set _sum_bitmatrix_rows.uses_vcc, 1
	.set _sum_bitmatrix_rows.uses_flat_scratch, 0
	.set _sum_bitmatrix_rows.has_dyn_sized_stack, 0
	.set _sum_bitmatrix_rows.has_recursion, 0
	.set _sum_bitmatrix_rows.has_indirect_call, 0
	.section	.AMDGPU.csdata,"",@progbits
; Kernel info:
; codeLenInByte = 880
; TotalNumSgprs: 24
; NumVgprs: 8
; NumAgprs: 0
; TotalNumVgprs: 8
; ScratchSize: 0
; MemoryBound: 0
; FloatMode: 240
; IeeeMode: 1
; LDSByteSize: 0 bytes/workgroup (compile time only)
; SGPRBlocks: 2
; VGPRBlocks: 0
; NumSGPRsForWavesPerEU: 24
; NumVGPRsForWavesPerEU: 8
; AccumOffset: 8
; Occupancy: 8
; WaveLimiterHint : 0
; COMPUTE_PGM_RSRC2:SCRATCH_EN: 0
; COMPUTE_PGM_RSRC2:USER_SGPR: 16
; COMPUTE_PGM_RSRC2:TRAP_HANDLER: 0
; COMPUTE_PGM_RSRC2:TGID_X_EN: 1
; COMPUTE_PGM_RSRC2:TGID_Y_EN: 1
; COMPUTE_PGM_RSRC2:TGID_Z_EN: 0
; COMPUTE_PGM_RSRC2:TIDIG_COMP_CNT: 0
; COMPUTE_PGM_RSRC3_GFX90A:ACCUM_OFFSET: 1
; COMPUTE_PGM_RSRC3_GFX90A:TG_SPLIT: 0
	.text
	.p2alignl 6, 3212836864
	.fill 256, 4, 3212836864
	.section	.AMDGPU.gpr_maximums,"",@progbits
	.set amdgpu.max_num_vgpr, 0
	.set amdgpu.max_num_agpr, 0
	.set amdgpu.max_num_sgpr, 0
	.set amdgpu.max_num_named_barrier, 0
	.text
	.section	.debug_abbrev,"",@progbits
	.byte	1                               ; Abbreviation Code
	.byte	17                              ; DW_TAG_compile_unit
	.byte	1                               ; DW_CHILDREN_yes
	.byte	37                              ; DW_AT_producer
	.byte	14                              ; DW_FORM_strp
	.byte	19                              ; DW_AT_language
	.byte	5                               ; DW_FORM_data2
	.byte	3                               ; DW_AT_name
	.byte	14                              ; DW_FORM_strp
	.byte	16                              ; DW_AT_stmt_list
	.byte	23                              ; DW_FORM_sec_offset
	.byte	27                              ; DW_AT_comp_dir
	.byte	14                              ; DW_FORM_strp
	.byte	17                              ; DW_AT_low_pc
	.byte	1                               ; DW_FORM_addr
	.byte	18                              ; DW_AT_high_pc
	.byte	6                               ; DW_FORM_data4
	.byte	0                               ; EOM(1)
	.byte	0                               ; EOM(2)
	.byte	2                               ; Abbreviation Code
	.byte	46                              ; DW_TAG_subprogram
	.byte	0                               ; DW_CHILDREN_no
	.byte	3                               ; DW_AT_name
	.byte	14                              ; DW_FORM_strp
	.byte	32                              ; DW_AT_inline
	.byte	11                              ; DW_FORM_data1
	.byte	0                               ; EOM(1)
	.byte	0                               ; EOM(2)
	.byte	3                               ; Abbreviation Code
	.byte	46                              ; DW_TAG_subprogram
	.byte	1                               ; DW_CHILDREN_yes
	.byte	17                              ; DW_AT_low_pc
	.byte	1                               ; DW_FORM_addr
	.byte	18                              ; DW_AT_high_pc
	.byte	6                               ; DW_FORM_data4
	.byte	49                              ; DW_AT_abstract_origin
	.byte	19                              ; DW_FORM_ref4
	.byte	0                               ; EOM(1)
	.byte	0                               ; EOM(2)
	.byte	4                               ; Abbreviation Code
	.byte	29                              ; DW_TAG_inlined_subroutine
	.byte	1                               ; DW_CHILDREN_yes
	.byte	49                              ; DW_AT_abstract_origin
	.byte	19                              ; DW_FORM_ref4
	.byte	85                              ; DW_AT_ranges
	.byte	23                              ; DW_FORM_sec_offset
	.byte	88                              ; DW_AT_call_file
	.byte	11                              ; DW_FORM_data1
	.byte	89                              ; DW_AT_call_line
	.byte	11                              ; DW_FORM_data1
	.byte	87                              ; DW_AT_call_column
	.byte	11                              ; DW_FORM_data1
	.byte	0                               ; EOM(1)
	.byte	0                               ; EOM(2)
	.byte	5                               ; Abbreviation Code
	.byte	29                              ; DW_TAG_inlined_subroutine
	.byte	0                               ; DW_CHILDREN_no
	.byte	49                              ; DW_AT_abstract_origin
	.byte	19                              ; DW_FORM_ref4
	.byte	85                              ; DW_AT_ranges
	.byte	23                              ; DW_FORM_sec_offset
	.byte	88                              ; DW_AT_call_file
	.byte	11                              ; DW_FORM_data1
	.byte	89                              ; DW_AT_call_line
	.byte	5                               ; DW_FORM_data2
	.byte	87                              ; DW_AT_call_column
	.byte	11                              ; DW_FORM_data1
	.byte	0                               ; EOM(1)
	.byte	0                               ; EOM(2)
	.byte	6                               ; Abbreviation Code
	.byte	29                              ; DW_TAG_inlined_subroutine
	.byte	0                               ; DW_CHILDREN_no
	.byte	49                              ; DW_AT_abstract_origin
	.byte	19                              ; DW_FORM_ref4
	.byte	85                              ; DW_AT_ranges
	.byte	23                              ; DW_FORM_sec_offset
	.byte	88                              ; DW_AT_call_file
	.byte	11                              ; DW_FORM_data1
	.byte	89                              ; DW_AT_call_line
	.byte	11                              ; DW_FORM_data1
	.byte	87                              ; DW_AT_call_column
	.byte	11                              ; DW_FORM_data1
	.byte	0                               ; EOM(1)
	.byte	0                               ; EOM(2)
	;; [unrolled: 1-line block ×3, first 2 shown]
	.section	.debug_info,"",@progbits
.Lcu_begin0:
	.long	.Ldebug_info_end0-.Ldebug_info_start0 ; Length of Unit
.Ldebug_info_start0:
	.short	4                               ; DWARF version number
	.long	.debug_abbrev                   ; Offset Into Abbrev. Section
	.byte	8                               ; Address Size (in bytes)
	.byte	1                               ; Abbrev [1] 0xb:0x85 DW_TAG_compile_unit
	.long	.Linfo_string0                  ; DW_AT_producer
	.short	2                               ; DW_AT_language
	.long	.Linfo_string1                  ; DW_AT_name
	.long	.Lline_table_start0             ; DW_AT_stmt_list
	.long	.Linfo_string2                  ; DW_AT_comp_dir
	.quad	.Lfunc_begin0                   ; DW_AT_low_pc
	.long	.Lfunc_end0-.Lfunc_begin0       ; DW_AT_high_pc
	.byte	2                               ; Abbrev [2] 0x2a:0x6 DW_TAG_subprogram
	.long	.Linfo_string3                  ; DW_AT_name
	.byte	1                               ; DW_AT_inline
	.byte	3                               ; Abbrev [3] 0x30:0x5f DW_TAG_subprogram
	.quad	.Lfunc_begin0                   ; DW_AT_low_pc
	.long	.Lfunc_end0-.Lfunc_begin0       ; DW_AT_high_pc
	.long	42                              ; DW_AT_abstract_origin
	.byte	4                               ; Abbrev [4] 0x41:0x41 DW_TAG_inlined_subroutine
	.long	42                              ; DW_AT_abstract_origin
	.long	.Ldebug_ranges0                 ; DW_AT_ranges
	.byte	1                               ; DW_AT_call_file
	.byte	61                              ; DW_AT_call_line
	.byte	28                              ; DW_AT_call_column
	.byte	4                               ; Abbrev [4] 0x4d:0x1a DW_TAG_inlined_subroutine
	.long	42                              ; DW_AT_abstract_origin
	.long	.Ldebug_ranges1                 ; DW_AT_ranges
	.byte	1                               ; DW_AT_call_file
	.byte	28                              ; DW_AT_call_line
	.byte	18                              ; DW_AT_call_column
	.byte	5                               ; Abbrev [5] 0x59:0xd DW_TAG_inlined_subroutine
	.long	42                              ; DW_AT_abstract_origin
	.long	.Ldebug_ranges2                 ; DW_AT_ranges
	.byte	2                               ; DW_AT_call_file
	.short	293                             ; DW_AT_call_line
	.byte	36                              ; DW_AT_call_column
	.byte	0                               ; End Of Children Mark
	.byte	4                               ; Abbrev [4] 0x67:0x1a DW_TAG_inlined_subroutine
	.long	42                              ; DW_AT_abstract_origin
	.long	.Ldebug_ranges3                 ; DW_AT_ranges
	.byte	1                               ; DW_AT_call_file
	.byte	36                              ; DW_AT_call_line
	.byte	18                              ; DW_AT_call_column
	.byte	5                               ; Abbrev [5] 0x73:0xd DW_TAG_inlined_subroutine
	.long	42                              ; DW_AT_abstract_origin
	.long	.Ldebug_ranges4                 ; DW_AT_ranges
	.byte	2                               ; DW_AT_call_file
	.short	293                             ; DW_AT_call_line
	.byte	36                              ; DW_AT_call_column
	.byte	0                               ; End Of Children Mark
	.byte	0                               ; End Of Children Mark
	.byte	6                               ; Abbrev [6] 0x82:0xc DW_TAG_inlined_subroutine
	.long	42                              ; DW_AT_abstract_origin
	.long	.Ldebug_ranges5                 ; DW_AT_ranges
	.byte	1                               ; DW_AT_call_file
	.byte	67                              ; DW_AT_call_line
	.byte	56                              ; DW_AT_call_column
	.byte	0                               ; End Of Children Mark
	.byte	0                               ; End Of Children Mark
.Ldebug_info_end0:
	.section	.debug_ranges,"",@progbits
.Ldebug_ranges0:
	.quad	.Ltmp2-.Lfunc_begin0
	.quad	.Ltmp16-.Lfunc_begin0
	;; [unrolled: 1-line block ×10, first 2 shown]
	.quad	0
	.quad	0
.Ldebug_ranges1:
	.quad	.Ltmp3-.Lfunc_begin0
	.quad	.Ltmp4-.Lfunc_begin0
	;; [unrolled: 1-line block ×12, first 2 shown]
	.quad	0
	.quad	0
.Ldebug_ranges2:
	.quad	.Ltmp5-.Lfunc_begin0
	.quad	.Ltmp6-.Lfunc_begin0
	;; [unrolled: 1-line block ×6, first 2 shown]
	.quad	0
	.quad	0
.Ldebug_ranges3:
	.quad	.Ltmp20-.Lfunc_begin0
	.quad	.Ltmp21-.Lfunc_begin0
	;; [unrolled: 1-line block ×6, first 2 shown]
	.quad	0
	.quad	0
.Ldebug_ranges4:
	.quad	.Ltmp25-.Lfunc_begin0
	.quad	.Ltmp26-.Lfunc_begin0
	.quad	.Ltmp27-.Lfunc_begin0
	.quad	.Ltmp28-.Lfunc_begin0
	.quad	.Ltmp29-.Lfunc_begin0
	.quad	.Ltmp30-.Lfunc_begin0
	.quad	0
	.quad	0
.Ldebug_ranges5:
	.quad	.Ltmp36-.Lfunc_begin0
	.quad	.Ltmp37-.Lfunc_begin0
	;; [unrolled: 1-line block ×4, first 2 shown]
	.quad	0
	.quad	0
	.section	.debug_str,"MS",@progbits,1
.Linfo_string0:
	.asciz	"triton"                        ; string offset=0
.Linfo_string1:
	.asciz	"sum_bitmatrix_rows.py"         ; string offset=7
.Linfo_string2:
	.asciz	"/root/src/amdgpu-assembly/repos/triton-lang__triton-aot" ; string offset=29
.Linfo_string3:
	.asciz	"_sum_bitmatrix_rows"           ; string offset=85
	.section	".note.GNU-stack","",@progbits
	.amdgpu_metadata
---
amdhsa.kernels:
  - .agpr_count:     0
    .args:
      - .address_space:  global
        .offset:         0
        .size:           8
        .value_kind:     global_buffer
      - .offset:         8
        .size:           4
        .value_kind:     by_value
      - .address_space:  global
        .offset:         16
        .size:           8
        .value_kind:     global_buffer
      - .address_space:  global
        .offset:         24
        .size:           8
        .value_kind:     global_buffer
      - .offset:         32
        .size:           4
        .value_kind:     by_value
      - .offset:         36
        .size:           4
        .value_kind:     by_value
      - .address_space:  global
        .offset:         40
        .size:           8
        .value_kind:     global_buffer
      - .address_space:  global
        .offset:         48
        .size:           8
        .value_kind:     global_buffer
    .group_segment_fixed_size: 0
    .kernarg_segment_align: 8
    .kernarg_segment_size: 56
    .max_flat_workgroup_size: 512
    .name:           _sum_bitmatrix_rows
    .private_segment_fixed_size: 0
    .sgpr_count:     24
    .sgpr_spill_count: 0
    .symbol:         _sum_bitmatrix_rows.kd
    .uniform_work_group_size: 1
    .uses_dynamic_stack: false
    .vgpr_count:     8
    .vgpr_spill_count: 0
    .wavefront_size: 64
amdhsa.target:   amdgcn-amd-amdhsa--gfx950
amdhsa.version:
  - 1
  - 2
...

	.end_amdgpu_metadata
	.section	.debug_line,"",@progbits
.Lline_table_start0:
